;; amdgpu-corpus repo=ROCm/rocFFT kind=compiled arch=gfx1030 opt=O3
	.text
	.amdgcn_target "amdgcn-amd-amdhsa--gfx1030"
	.amdhsa_code_object_version 6
	.protected	fft_rtc_fwd_len1300_factors_10_10_13_wgs_130_tpt_130_sp_ip_CI_unitstride_sbrr_dirReg ; -- Begin function fft_rtc_fwd_len1300_factors_10_10_13_wgs_130_tpt_130_sp_ip_CI_unitstride_sbrr_dirReg
	.globl	fft_rtc_fwd_len1300_factors_10_10_13_wgs_130_tpt_130_sp_ip_CI_unitstride_sbrr_dirReg
	.p2align	8
	.type	fft_rtc_fwd_len1300_factors_10_10_13_wgs_130_tpt_130_sp_ip_CI_unitstride_sbrr_dirReg,@function
fft_rtc_fwd_len1300_factors_10_10_13_wgs_130_tpt_130_sp_ip_CI_unitstride_sbrr_dirReg: ; @fft_rtc_fwd_len1300_factors_10_10_13_wgs_130_tpt_130_sp_ip_CI_unitstride_sbrr_dirReg
; %bb.0:
	s_clause 0x2
	s_load_dwordx4 s[8:11], s[4:5], 0x0
	s_load_dwordx2 s[2:3], s[4:5], 0x50
	s_load_dwordx2 s[12:13], s[4:5], 0x18
	v_mul_u32_u24_e32 v1, 0x1f9, v0
	v_mov_b32_e32 v3, 0
	v_add_nc_u32_sdwa v5, s6, v1 dst_sel:DWORD dst_unused:UNUSED_PAD src0_sel:DWORD src1_sel:WORD_1
	v_mov_b32_e32 v1, 0
	v_mov_b32_e32 v6, v3
	v_mov_b32_e32 v2, 0
	s_waitcnt lgkmcnt(0)
	v_cmp_lt_u64_e64 s0, s[10:11], 2
	s_and_b32 vcc_lo, exec_lo, s0
	s_cbranch_vccnz .LBB0_8
; %bb.1:
	s_load_dwordx2 s[0:1], s[4:5], 0x10
	v_mov_b32_e32 v1, 0
	s_add_u32 s6, s12, 8
	v_mov_b32_e32 v2, 0
	s_addc_u32 s7, s13, 0
	s_mov_b64 s[16:17], 1
	s_waitcnt lgkmcnt(0)
	s_add_u32 s14, s0, 8
	s_addc_u32 s15, s1, 0
.LBB0_2:                                ; =>This Inner Loop Header: Depth=1
	s_load_dwordx2 s[18:19], s[14:15], 0x0
                                        ; implicit-def: $vgpr7_vgpr8
	s_mov_b32 s0, exec_lo
	s_waitcnt lgkmcnt(0)
	v_or_b32_e32 v4, s19, v6
	v_cmpx_ne_u64_e32 0, v[3:4]
	s_xor_b32 s1, exec_lo, s0
	s_cbranch_execz .LBB0_4
; %bb.3:                                ;   in Loop: Header=BB0_2 Depth=1
	v_cvt_f32_u32_e32 v4, s18
	v_cvt_f32_u32_e32 v7, s19
	s_sub_u32 s0, 0, s18
	s_subb_u32 s20, 0, s19
	v_fmac_f32_e32 v4, 0x4f800000, v7
	v_rcp_f32_e32 v4, v4
	v_mul_f32_e32 v4, 0x5f7ffffc, v4
	v_mul_f32_e32 v7, 0x2f800000, v4
	v_trunc_f32_e32 v7, v7
	v_fmac_f32_e32 v4, 0xcf800000, v7
	v_cvt_u32_f32_e32 v7, v7
	v_cvt_u32_f32_e32 v4, v4
	v_mul_lo_u32 v8, s0, v7
	v_mul_hi_u32 v9, s0, v4
	v_mul_lo_u32 v10, s20, v4
	v_add_nc_u32_e32 v8, v9, v8
	v_mul_lo_u32 v9, s0, v4
	v_add_nc_u32_e32 v8, v8, v10
	v_mul_hi_u32 v10, v4, v9
	v_mul_lo_u32 v11, v4, v8
	v_mul_hi_u32 v12, v4, v8
	v_mul_hi_u32 v13, v7, v9
	v_mul_lo_u32 v9, v7, v9
	v_mul_hi_u32 v14, v7, v8
	v_mul_lo_u32 v8, v7, v8
	v_add_co_u32 v10, vcc_lo, v10, v11
	v_add_co_ci_u32_e32 v11, vcc_lo, 0, v12, vcc_lo
	v_add_co_u32 v9, vcc_lo, v10, v9
	v_add_co_ci_u32_e32 v9, vcc_lo, v11, v13, vcc_lo
	v_add_co_ci_u32_e32 v10, vcc_lo, 0, v14, vcc_lo
	v_add_co_u32 v8, vcc_lo, v9, v8
	v_add_co_ci_u32_e32 v9, vcc_lo, 0, v10, vcc_lo
	v_add_co_u32 v4, vcc_lo, v4, v8
	v_add_co_ci_u32_e32 v7, vcc_lo, v7, v9, vcc_lo
	v_mul_hi_u32 v8, s0, v4
	v_mul_lo_u32 v10, s20, v4
	v_mul_lo_u32 v9, s0, v7
	v_add_nc_u32_e32 v8, v8, v9
	v_mul_lo_u32 v9, s0, v4
	v_add_nc_u32_e32 v8, v8, v10
	v_mul_hi_u32 v10, v4, v9
	v_mul_lo_u32 v11, v4, v8
	v_mul_hi_u32 v12, v4, v8
	v_mul_hi_u32 v13, v7, v9
	v_mul_lo_u32 v9, v7, v9
	v_mul_hi_u32 v14, v7, v8
	v_mul_lo_u32 v8, v7, v8
	v_add_co_u32 v10, vcc_lo, v10, v11
	v_add_co_ci_u32_e32 v11, vcc_lo, 0, v12, vcc_lo
	v_add_co_u32 v9, vcc_lo, v10, v9
	v_add_co_ci_u32_e32 v9, vcc_lo, v11, v13, vcc_lo
	v_add_co_ci_u32_e32 v10, vcc_lo, 0, v14, vcc_lo
	v_add_co_u32 v8, vcc_lo, v9, v8
	v_add_co_ci_u32_e32 v9, vcc_lo, 0, v10, vcc_lo
	v_add_co_u32 v4, vcc_lo, v4, v8
	v_add_co_ci_u32_e32 v11, vcc_lo, v7, v9, vcc_lo
	v_mul_hi_u32 v13, v5, v4
	v_mad_u64_u32 v[9:10], null, v6, v4, 0
	v_mad_u64_u32 v[7:8], null, v5, v11, 0
	;; [unrolled: 1-line block ×3, first 2 shown]
	v_add_co_u32 v4, vcc_lo, v13, v7
	v_add_co_ci_u32_e32 v7, vcc_lo, 0, v8, vcc_lo
	v_add_co_u32 v4, vcc_lo, v4, v9
	v_add_co_ci_u32_e32 v4, vcc_lo, v7, v10, vcc_lo
	v_add_co_ci_u32_e32 v7, vcc_lo, 0, v12, vcc_lo
	v_add_co_u32 v4, vcc_lo, v4, v11
	v_add_co_ci_u32_e32 v9, vcc_lo, 0, v7, vcc_lo
	v_mul_lo_u32 v10, s19, v4
	v_mad_u64_u32 v[7:8], null, s18, v4, 0
	v_mul_lo_u32 v11, s18, v9
	v_sub_co_u32 v7, vcc_lo, v5, v7
	v_add3_u32 v8, v8, v11, v10
	v_sub_nc_u32_e32 v10, v6, v8
	v_subrev_co_ci_u32_e64 v10, s0, s19, v10, vcc_lo
	v_add_co_u32 v11, s0, v4, 2
	v_add_co_ci_u32_e64 v12, s0, 0, v9, s0
	v_sub_co_u32 v13, s0, v7, s18
	v_sub_co_ci_u32_e32 v8, vcc_lo, v6, v8, vcc_lo
	v_subrev_co_ci_u32_e64 v10, s0, 0, v10, s0
	v_cmp_le_u32_e32 vcc_lo, s18, v13
	v_cmp_eq_u32_e64 s0, s19, v8
	v_cndmask_b32_e64 v13, 0, -1, vcc_lo
	v_cmp_le_u32_e32 vcc_lo, s19, v10
	v_cndmask_b32_e64 v14, 0, -1, vcc_lo
	v_cmp_le_u32_e32 vcc_lo, s18, v7
	;; [unrolled: 2-line block ×3, first 2 shown]
	v_cndmask_b32_e64 v15, 0, -1, vcc_lo
	v_cmp_eq_u32_e32 vcc_lo, s19, v10
	v_cndmask_b32_e64 v7, v15, v7, s0
	v_cndmask_b32_e32 v10, v14, v13, vcc_lo
	v_add_co_u32 v13, vcc_lo, v4, 1
	v_add_co_ci_u32_e32 v14, vcc_lo, 0, v9, vcc_lo
	v_cmp_ne_u32_e32 vcc_lo, 0, v10
	v_cndmask_b32_e32 v8, v14, v12, vcc_lo
	v_cndmask_b32_e32 v10, v13, v11, vcc_lo
	v_cmp_ne_u32_e32 vcc_lo, 0, v7
	v_cndmask_b32_e32 v8, v9, v8, vcc_lo
	v_cndmask_b32_e32 v7, v4, v10, vcc_lo
.LBB0_4:                                ;   in Loop: Header=BB0_2 Depth=1
	s_andn2_saveexec_b32 s0, s1
	s_cbranch_execz .LBB0_6
; %bb.5:                                ;   in Loop: Header=BB0_2 Depth=1
	v_cvt_f32_u32_e32 v4, s18
	s_sub_i32 s1, 0, s18
	v_rcp_iflag_f32_e32 v4, v4
	v_mul_f32_e32 v4, 0x4f7ffffe, v4
	v_cvt_u32_f32_e32 v4, v4
	v_mul_lo_u32 v7, s1, v4
	v_mul_hi_u32 v7, v4, v7
	v_add_nc_u32_e32 v4, v4, v7
	v_mul_hi_u32 v4, v5, v4
	v_mul_lo_u32 v7, v4, s18
	v_add_nc_u32_e32 v8, 1, v4
	v_sub_nc_u32_e32 v7, v5, v7
	v_subrev_nc_u32_e32 v9, s18, v7
	v_cmp_le_u32_e32 vcc_lo, s18, v7
	v_cndmask_b32_e32 v7, v7, v9, vcc_lo
	v_cndmask_b32_e32 v4, v4, v8, vcc_lo
	v_cmp_le_u32_e32 vcc_lo, s18, v7
	v_add_nc_u32_e32 v8, 1, v4
	v_cndmask_b32_e32 v7, v4, v8, vcc_lo
	v_mov_b32_e32 v8, v3
.LBB0_6:                                ;   in Loop: Header=BB0_2 Depth=1
	s_or_b32 exec_lo, exec_lo, s0
	s_load_dwordx2 s[0:1], s[6:7], 0x0
	v_mul_lo_u32 v4, v8, s18
	v_mul_lo_u32 v11, v7, s19
	v_mad_u64_u32 v[9:10], null, v7, s18, 0
	s_add_u32 s16, s16, 1
	s_addc_u32 s17, s17, 0
	s_add_u32 s6, s6, 8
	s_addc_u32 s7, s7, 0
	;; [unrolled: 2-line block ×3, first 2 shown]
	v_add3_u32 v4, v10, v11, v4
	v_sub_co_u32 v5, vcc_lo, v5, v9
	v_sub_co_ci_u32_e32 v4, vcc_lo, v6, v4, vcc_lo
	s_waitcnt lgkmcnt(0)
	v_mul_lo_u32 v6, s1, v5
	v_mul_lo_u32 v4, s0, v4
	v_mad_u64_u32 v[1:2], null, s0, v5, v[1:2]
	v_cmp_ge_u64_e64 s0, s[16:17], s[10:11]
	s_and_b32 vcc_lo, exec_lo, s0
	v_add3_u32 v2, v6, v2, v4
	s_cbranch_vccnz .LBB0_9
; %bb.7:                                ;   in Loop: Header=BB0_2 Depth=1
	v_mov_b32_e32 v5, v7
	v_mov_b32_e32 v6, v8
	s_branch .LBB0_2
.LBB0_8:
	v_mov_b32_e32 v8, v6
	v_mov_b32_e32 v7, v5
.LBB0_9:
	s_lshl_b64 s[0:1], s[10:11], 3
	v_mul_hi_u32 v5, 0x1f81f82, v0
	s_add_u32 s0, s12, s0
	s_addc_u32 s1, s13, s1
                                        ; implicit-def: $vgpr13
                                        ; implicit-def: $vgpr15
                                        ; implicit-def: $vgpr11
                                        ; implicit-def: $vgpr17
                                        ; implicit-def: $vgpr19
                                        ; implicit-def: $vgpr9
	s_load_dwordx2 s[0:1], s[0:1], 0x0
	s_load_dwordx2 s[4:5], s[4:5], 0x20
	s_waitcnt lgkmcnt(0)
	v_mul_lo_u32 v3, s0, v8
	v_mul_lo_u32 v4, s1, v7
	v_mad_u64_u32 v[1:2], null, s0, v7, v[1:2]
	v_cmp_gt_u64_e32 vcc_lo, s[4:5], v[7:8]
                                        ; implicit-def: $vgpr7
	v_add3_u32 v2, v4, v2, v3
	v_mul_u32_u24_e32 v3, 0x82, v5
                                        ; implicit-def: $vgpr5
	v_lshlrev_b64 v[24:25], 3, v[1:2]
	v_sub_nc_u32_e32 v26, v0, v3
                                        ; implicit-def: $vgpr1
                                        ; implicit-def: $vgpr3
	s_and_saveexec_b32 s1, vcc_lo
	s_cbranch_execz .LBB0_11
; %bb.10:
	v_mov_b32_e32 v27, 0
	v_add_co_u32 v2, s0, s2, v24
	v_add_co_ci_u32_e64 v3, s0, s3, v25, s0
	v_lshlrev_b64 v[0:1], 3, v[26:27]
	v_add_co_u32 v6, s0, v2, v0
	v_add_co_ci_u32_e64 v7, s0, v3, v1, s0
	v_add_co_u32 v4, s0, 0x800, v6
	v_add_co_ci_u32_e64 v5, s0, 0, v7, s0
	;; [unrolled: 2-line block ×4, first 2 shown]
	s_clause 0x3
	global_load_dwordx2 v[0:1], v[6:7], off
	global_load_dwordx2 v[2:3], v[6:7], off offset:1040
	global_load_dwordx2 v[12:13], v[4:5], off offset:32
	;; [unrolled: 1-line block ×3, first 2 shown]
	v_add_co_u32 v6, s0, 0x2000, v6
	v_add_co_ci_u32_e64 v7, s0, 0, v7, s0
	s_clause 0x5
	global_load_dwordx2 v[14:15], v[8:9], off offset:64
	global_load_dwordx2 v[10:11], v[8:9], off offset:1104
	;; [unrolled: 1-line block ×6, first 2 shown]
.LBB0_11:
	s_or_b32 exec_lo, exec_lo, s1
	s_waitcnt vmcnt(3)
	v_add_f32_e32 v20, v14, v16
	v_add_f32_e32 v21, v0, v12
	s_waitcnt vmcnt(1)
	v_sub_f32_e32 v22, v13, v19
	v_add_f32_e32 v29, v12, v18
	v_sub_f32_e32 v23, v15, v17
	v_fma_f32 v20, -0.5, v20, v0
	v_sub_f32_e32 v27, v12, v14
	v_sub_f32_e32 v28, v18, v16
	v_add_f32_e32 v21, v21, v14
	v_fmac_f32_e32 v0, -0.5, v29
	v_fmamk_f32 v31, v22, 0x3f737871, v20
	v_fmac_f32_e32 v20, 0xbf737871, v22
	v_add_f32_e32 v32, v1, v13
	v_sub_f32_e32 v30, v14, v12
	v_add_f32_e32 v27, v27, v28
	v_add_f32_e32 v21, v21, v16
	v_fmac_f32_e32 v31, 0x3f167918, v23
	v_sub_f32_e32 v28, v16, v18
	v_fmamk_f32 v29, v23, 0xbf737871, v0
	v_fmac_f32_e32 v20, 0xbf167918, v23
	v_add_f32_e32 v33, v15, v17
	v_fmac_f32_e32 v0, 0x3f737871, v23
	v_add_f32_e32 v23, v32, v15
	v_add_f32_e32 v21, v21, v18
	;; [unrolled: 1-line block ×3, first 2 shown]
	v_fma_f32 v30, -0.5, v33, v1
	v_sub_f32_e32 v12, v12, v18
	v_add_f32_e32 v18, v23, v17
	v_add_f32_e32 v23, v13, v19
	v_fmac_f32_e32 v31, 0x3e9e377a, v27
	v_fmac_f32_e32 v29, 0x3f167918, v22
	;; [unrolled: 1-line block ×4, first 2 shown]
	v_fmamk_f32 v22, v12, 0xbf737871, v30
	v_sub_f32_e32 v14, v14, v16
	v_sub_f32_e32 v16, v13, v15
	;; [unrolled: 1-line block ×3, first 2 shown]
	v_fmac_f32_e32 v1, -0.5, v23
	v_fmac_f32_e32 v30, 0x3f737871, v12
	v_fmac_f32_e32 v22, 0xbf167918, v14
	v_sub_f32_e32 v13, v15, v13
	v_add_f32_e32 v16, v16, v27
	v_fmamk_f32 v27, v14, 0x3f737871, v1
	v_sub_f32_e32 v15, v17, v19
	v_fmac_f32_e32 v30, 0x3f167918, v14
	v_add_f32_e32 v17, v10, v8
	v_fmac_f32_e32 v1, 0xbf737871, v14
	v_add_f32_e32 v14, v2, v4
	v_fmac_f32_e32 v27, 0xbf167918, v12
	v_add_f32_e32 v13, v13, v15
	v_fma_f32 v15, -0.5, v17, v2
	s_waitcnt vmcnt(0)
	v_sub_f32_e32 v17, v5, v7
	v_fmac_f32_e32 v1, 0x3f167918, v12
	v_add_f32_e32 v12, v14, v10
	v_fmac_f32_e32 v29, 0x3e9e377a, v28
	v_fmac_f32_e32 v0, 0x3e9e377a, v28
	v_add_f32_e32 v23, v18, v19
	v_fmac_f32_e32 v22, 0x3e9e377a, v16
	v_fmac_f32_e32 v30, 0x3e9e377a, v16
	v_fmamk_f32 v14, v17, 0x3f737871, v15
	v_sub_f32_e32 v16, v11, v9
	v_sub_f32_e32 v18, v4, v10
	;; [unrolled: 1-line block ×3, first 2 shown]
	v_fmac_f32_e32 v15, 0xbf737871, v17
	v_add_f32_e32 v28, v4, v6
	v_add_f32_e32 v12, v12, v8
	v_fmac_f32_e32 v14, 0x3f167918, v16
	v_add_f32_e32 v18, v18, v19
	v_fmac_f32_e32 v15, 0xbf167918, v16
	v_fmac_f32_e32 v2, -0.5, v28
	v_add_f32_e32 v19, v6, v12
	v_add_f32_e32 v12, v11, v9
	v_fmac_f32_e32 v27, 0x3e9e377a, v13
	v_fmac_f32_e32 v1, 0x3e9e377a, v13
	;; [unrolled: 1-line block ×4, first 2 shown]
	v_fmamk_f32 v13, v16, 0xbf737871, v2
	v_sub_f32_e32 v18, v10, v4
	v_sub_f32_e32 v28, v8, v6
	v_fmac_f32_e32 v2, 0x3f737871, v16
	v_fma_f32 v16, -0.5, v12, v3
	v_add_f32_e32 v12, v5, v7
	v_fmac_f32_e32 v13, 0x3f167918, v17
	v_sub_f32_e32 v4, v4, v6
	v_add_f32_e32 v6, v18, v28
	v_fmac_f32_e32 v2, 0xbf167918, v17
	v_add_f32_e32 v17, v3, v5
	v_sub_f32_e32 v8, v10, v8
	v_fmac_f32_e32 v3, -0.5, v12
	v_fmac_f32_e32 v13, 0x3e9e377a, v6
	v_fmac_f32_e32 v2, 0x3e9e377a, v6
	v_add_f32_e32 v6, v17, v11
	v_sub_f32_e32 v10, v5, v11
	v_fmamk_f32 v17, v8, 0x3f737871, v3
	v_sub_f32_e32 v5, v11, v5
	v_sub_f32_e32 v11, v9, v7
	v_fmac_f32_e32 v3, 0xbf737871, v8
	v_fmamk_f32 v18, v4, 0xbf737871, v16
	v_fmac_f32_e32 v17, 0xbf167918, v4
	v_sub_f32_e32 v12, v7, v9
	v_add_f32_e32 v5, v5, v11
	v_fmac_f32_e32 v3, 0x3f167918, v4
	v_fmac_f32_e32 v16, 0x3f737871, v4
	v_add_f32_e32 v4, v6, v9
	v_and_b32_e32 v9, 0xff, v26
	v_fmac_f32_e32 v17, 0x3e9e377a, v5
	v_fmac_f32_e32 v3, 0x3e9e377a, v5
	v_mul_f32_e32 v5, 0x3e9e377a, v2
	v_add_f32_e32 v10, v10, v12
	v_fmac_f32_e32 v16, 0x3f167918, v8
	v_fmac_f32_e32 v18, 0xbf167918, v8
	v_mul_f32_e32 v37, 0xbf737871, v13
	v_fma_f32 v34, 0x3f737871, v3, -v5
	v_mul_f32_e32 v3, 0x3e9e377a, v3
	v_fmac_f32_e32 v16, 0x3e9e377a, v10
	v_fmac_f32_e32 v18, 0x3e9e377a, v10
	v_mul_f32_e32 v28, 0x3f4f1bbd, v14
	v_mul_f32_e32 v32, 0x3f737871, v17
	v_fma_f32 v38, 0xbf737871, v2, -v3
	v_mul_lo_u16 v2, 0xcd, v9
	v_mul_f32_e32 v6, 0x3f4f1bbd, v15
	v_add_f32_e32 v33, v7, v4
	v_mul_f32_e32 v36, 0xbf167918, v14
	v_fmac_f32_e32 v37, 0x3e9e377a, v17
	v_lshrrev_b16 v40, 11, v2
	v_mul_f32_e32 v7, 0x3f4f1bbd, v16
	v_fmac_f32_e32 v28, 0x3f167918, v18
	v_fma_f32 v35, 0x3f167918, v16, -v6
	v_add_f32_e32 v4, v21, v19
	v_mul_lo_u16 v17, v40, 10
	v_add_f32_e32 v5, v23, v33
	v_fmac_f32_e32 v36, 0x3f4f1bbd, v18
	v_sub_f32_e32 v2, v21, v19
	v_mul_u32_u24_e32 v19, 10, v26
	v_sub_f32_e32 v3, v23, v33
	v_sub_nc_u16 v23, v26, v17
	v_mov_b32_e32 v21, 9
	v_fmac_f32_e32 v32, 0x3e9e377a, v13
	v_fma_f32 v39, 0xbf167918, v15, -v7
	v_add_f32_e32 v6, v31, v28
	v_add_f32_e32 v12, v20, v35
	;; [unrolled: 1-line block ×3, first 2 shown]
	v_sub_f32_e32 v18, v20, v35
	v_lshl_add_u32 v20, v19, 3, 0
	v_mul_u32_u24_sdwa v21, v23, v21 dst_sel:DWORD dst_unused:UNUSED_PAD src0_sel:BYTE_0 src1_sel:DWORD
	v_add_f32_e32 v8, v29, v32
	v_add_f32_e32 v10, v0, v34
	;; [unrolled: 1-line block ×5, first 2 shown]
	v_sub_f32_e32 v14, v31, v28
	v_sub_f32_e32 v16, v29, v32
	;; [unrolled: 1-line block ×7, first 2 shown]
	ds_write2_b64 v20, v[4:5], v[6:7] offset1:1
	ds_write2_b64 v20, v[8:9], v[10:11] offset0:2 offset1:3
	ds_write2_b64 v20, v[12:13], v[2:3] offset0:4 offset1:5
	;; [unrolled: 1-line block ×3, first 2 shown]
	v_lshlrev_b32_e32 v16, 3, v21
	v_mad_i32_i24 v35, 0xffffffb8, v26, v20
	v_mov_b32_e32 v36, 0x320
	ds_write2_b64 v20, v[0:1], v[18:19] offset0:8 offset1:9
	s_waitcnt lgkmcnt(0)
	s_barrier
	buffer_gl0_inv
	s_clause 0x4
	global_load_dwordx4 v[0:3], v16, s[8:9]
	global_load_dwordx4 v[4:7], v16, s[8:9] offset:16
	global_load_dwordx4 v[8:11], v16, s[8:9] offset:32
	;; [unrolled: 1-line block ×3, first 2 shown]
	global_load_dwordx2 v[21:22], v16, s[8:9] offset:64
	v_add_nc_u32_e32 v27, 0x800, v35
	v_add_nc_u32_e32 v31, 0x1000, v35
	v_mov_b32_e32 v39, 3
	v_add_nc_u32_e32 v37, 0x1800, v35
	v_add_nc_u32_e32 v41, 0x2000, v35
	ds_read2_b64 v[16:19], v35 offset1:130
	ds_read2_b64 v[27:30], v27 offset0:4 offset1:134
	ds_read2_b64 v[31:34], v31 offset0:8 offset1:138
	v_mul_u32_u24_sdwa v43, v40, v36 dst_sel:DWORD dst_unused:UNUSED_PAD src0_sel:WORD_0 src1_sel:DWORD
	ds_read2_b64 v[35:38], v37 offset0:12 offset1:142
	v_lshlrev_b32_sdwa v23, v39, v23 dst_sel:DWORD dst_unused:UNUSED_PAD src0_sel:DWORD src1_sel:BYTE_0
	ds_read2_b64 v[39:42], v41 offset0:16 offset1:146
	v_cmp_gt_u32_e64 s0, 0x64, v26
	s_waitcnt vmcnt(0) lgkmcnt(0)
	s_barrier
	v_add3_u32 v23, 0, v43, v23
	buffer_gl0_inv
	v_mul_f32_e32 v43, v1, v19
	v_mul_f32_e32 v44, v1, v18
	;; [unrolled: 1-line block ×18, first 2 shown]
	v_fma_f32 v18, v0, v18, -v43
	v_fmac_f32_e32 v44, v0, v19
	v_fma_f32 v0, v2, v27, -v1
	v_fmac_f32_e32 v3, v2, v28
	;; [unrolled: 2-line block ×7, first 2 shown]
	v_fma_f32 v10, v39, v14, -v50
	v_fma_f32 v12, v41, v21, -v51
	v_fmac_f32_e32 v22, v42, v21
	v_fmac_f32_e32 v15, v40, v14
	v_add_f32_e32 v14, v16, v0
	v_sub_f32_e32 v28, v0, v2
	v_sub_f32_e32 v29, v10, v6
	;; [unrolled: 1-line block ×4, first 2 shown]
	v_add_f32_e32 v33, v17, v3
	v_add_f32_e32 v34, v7, v11
	;; [unrolled: 1-line block ×9, first 2 shown]
	v_sub_f32_e32 v21, v3, v15
	v_sub_f32_e32 v27, v7, v11
	;; [unrolled: 1-line block ×4, first 2 shown]
	v_add_f32_e32 v38, v3, v15
	v_sub_f32_e32 v3, v7, v3
	v_sub_f32_e32 v42, v5, v22
	;; [unrolled: 1-line block ×9, first 2 shown]
	v_add_f32_e32 v2, v14, v2
	v_add_f32_e32 v14, v28, v29
	;; [unrolled: 1-line block ×4, first 2 shown]
	v_fma_f32 v29, -0.5, v34, v17
	v_add_f32_e32 v4, v40, v4
	v_fma_f32 v31, -0.5, v41, v18
	v_fmac_f32_e32 v18, -0.5, v47
	v_add_f32_e32 v9, v50, v9
	v_fma_f32 v34, -0.5, v51, v44
	v_fmac_f32_e32 v44, -0.5, v55
	v_add_f32_e32 v30, v0, v10
	v_sub_f32_e32 v37, v15, v11
	v_sub_f32_e32 v39, v11, v15
	;; [unrolled: 1-line block ×6, first 2 shown]
	v_fma_f32 v17, -0.5, v38, v17
	v_add_f32_e32 v2, v2, v6
	v_add_f32_e32 v6, v7, v11
	;; [unrolled: 1-line block ×3, first 2 shown]
	v_fmamk_f32 v8, v42, 0x3f737871, v31
	v_fmac_f32_e32 v31, 0xbf737871, v42
	v_fmamk_f32 v40, v43, 0xbf737871, v18
	v_fmac_f32_e32 v18, 0x3f737871, v43
	v_add_f32_e32 v7, v9, v13
	v_fmamk_f32 v9, v1, 0xbf737871, v34
	v_fmac_f32_e32 v34, 0x3f737871, v1
	v_fmamk_f32 v13, v52, 0x3f737871, v44
	v_fmac_f32_e32 v44, 0xbf737871, v52
	v_sub_f32_e32 v0, v0, v10
	v_fma_f32 v19, -0.5, v19, v16
	v_fma_f32 v16, -0.5, v30, v16
	v_add_f32_e32 v30, v36, v37
	v_add_f32_e32 v3, v3, v39
	;; [unrolled: 1-line block ×6, first 2 shown]
	v_fmamk_f32 v39, v35, 0x3f737871, v17
	v_fmac_f32_e32 v17, 0xbf737871, v35
	v_fmac_f32_e32 v8, 0x3f167918, v43
	;; [unrolled: 1-line block ×9, first 2 shown]
	v_fmamk_f32 v37, v21, 0x3f737871, v19
	v_fmac_f32_e32 v19, 0xbf737871, v21
	v_fmamk_f32 v38, v27, 0xbf737871, v16
	v_fmac_f32_e32 v16, 0x3f737871, v27
	;; [unrolled: 2-line block ×3, first 2 shown]
	v_add_f32_e32 v2, v2, v10
	v_add_f32_e32 v10, v6, v15
	v_fmac_f32_e32 v39, 0xbf167918, v0
	v_fmac_f32_e32 v17, 0x3f167918, v0
	v_add_f32_e32 v4, v4, v12
	v_add_f32_e32 v7, v7, v22
	v_fmac_f32_e32 v8, 0x3e9e377a, v32
	v_fmac_f32_e32 v31, 0x3e9e377a, v32
	;; [unrolled: 1-line block ×16, first 2 shown]
	v_add_f32_e32 v0, v2, v4
	v_add_f32_e32 v1, v10, v7
	v_sub_f32_e32 v6, v2, v4
	v_sub_f32_e32 v7, v10, v7
	v_mul_f32_e32 v10, 0x3f167918, v9
	v_mul_f32_e32 v21, 0x3f737871, v13
	;; [unrolled: 1-line block ×8, first 2 shown]
	v_fmac_f32_e32 v37, 0x3e9e377a, v14
	v_fmac_f32_e32 v19, 0x3e9e377a, v14
	v_fmac_f32_e32 v38, 0x3e9e377a, v28
	v_fmac_f32_e32 v16, 0x3e9e377a, v28
	v_fmac_f32_e32 v11, 0x3e9e377a, v30
	v_fmac_f32_e32 v29, 0x3e9e377a, v30
	v_fmac_f32_e32 v10, 0x3f4f1bbd, v8
	v_fmac_f32_e32 v21, 0x3e9e377a, v40
	v_fma_f32 v28, 0x3f737871, v44, -v2
	v_fma_f32 v30, 0x3f167918, v34, -v3
	v_fmac_f32_e32 v22, 0x3f4f1bbd, v9
	v_fmac_f32_e32 v27, 0x3e9e377a, v13
	v_fma_f32 v32, 0xbf737871, v18, -v4
	v_fma_f32 v31, 0xbf167918, v31, -v5
	v_add_f32_e32 v2, v37, v10
	v_add_f32_e32 v12, v38, v21
	;; [unrolled: 1-line block ×8, first 2 shown]
	v_sub_f32_e32 v8, v37, v10
	v_sub_f32_e32 v10, v38, v21
	;; [unrolled: 1-line block ×8, first 2 shown]
	ds_write2_b64 v23, v[0:1], v[2:3] offset1:10
	ds_write2_b64 v23, v[12:13], v[14:15] offset0:20 offset1:30
	ds_write2_b64 v23, v[4:5], v[6:7] offset0:40 offset1:50
	;; [unrolled: 1-line block ×4, first 2 shown]
	s_waitcnt lgkmcnt(0)
	s_barrier
	buffer_gl0_inv
                                        ; implicit-def: $vgpr28
                                        ; implicit-def: $vgpr23
	s_and_saveexec_b32 s1, s0
	s_cbranch_execnz .LBB0_14
; %bb.12:
	s_or_b32 exec_lo, exec_lo, s1
	s_and_b32 s0, vcc_lo, s0
	s_and_saveexec_b32 s1, s0
	s_cbranch_execnz .LBB0_15
.LBB0_13:
	s_endpgm
.LBB0_14:
	v_mul_i32_i24_e32 v0, 0xffffffb8, v26
	v_add_nc_u32_e32 v27, v20, v0
	v_add_nc_u32_e32 v4, 0x400, v27
	;; [unrolled: 1-line block ×6, first 2 shown]
	ds_read2_b64 v[0:3], v27 offset1:100
	ds_read2_b64 v[12:15], v4 offset0:72 offset1:172
	ds_read2_b64 v[4:7], v5 offset0:144 offset1:244
	;; [unrolled: 1-line block ×5, first 2 shown]
	ds_read_b64 v[27:28], v27 offset:9600
	s_or_b32 exec_lo, exec_lo, s1
	s_and_b32 s0, vcc_lo, s0
	s_and_saveexec_b32 s1, s0
	s_cbranch_execz .LBB0_13
.LBB0_15:
	v_mul_u32_u24_e32 v29, 12, v26
	v_lshlrev_b32_e32 v29, 3, v29
	s_clause 0x5
	global_load_dwordx4 v[41:44], v29, s[8:9] offset:720
	global_load_dwordx4 v[47:50], v29, s[8:9] offset:800
	;; [unrolled: 1-line block ×6, first 2 shown]
	s_waitcnt vmcnt(5) lgkmcnt(6)
	v_mul_f32_e32 v37, v3, v42
	s_waitcnt vmcnt(4) lgkmcnt(0)
	v_mul_f32_e32 v38, v28, v50
	v_mul_f32_e32 v46, v2, v42
	;; [unrolled: 1-line block ×7, first 2 shown]
	s_waitcnt vmcnt(3)
	v_mul_f32_e32 v48, v15, v52
	s_waitcnt vmcnt(2)
	v_mul_f32_e32 v50, v21, v58
	v_mul_f32_e32 v31, v20, v58
	v_fma_f32 v27, v27, v49, -v38
	v_fma_f32 v22, v22, v47, -v42
	v_fmac_f32_e32 v30, v23, v47
	v_fma_f32 v47, v2, v41, -v37
	v_mul_f32_e32 v39, v14, v52
	v_mul_f32_e32 v58, v5, v54
	;; [unrolled: 1-line block ×5, first 2 shown]
	s_waitcnt vmcnt(1)
	v_mul_f32_e32 v54, v7, v60
	s_waitcnt vmcnt(0)
	v_mul_f32_e32 v56, v17, v66
	v_mul_f32_e32 v33, v16, v66
	;; [unrolled: 1-line block ×4, first 2 shown]
	v_fmac_f32_e32 v29, v28, v49
	v_fmac_f32_e32 v46, v3, v41
	v_fma_f32 v52, v12, v43, -v45
	v_fmac_f32_e32 v44, v13, v43
	v_fma_f32 v20, v20, v57, -v50
	;; [unrolled: 2-line block ×3, first 2 shown]
	v_sub_f32_e32 v48, v47, v27
	v_add_f32_e32 v57, v0, v47
	v_mul_f32_e32 v35, v8, v62
	v_fmac_f32_e32 v39, v15, v51
	v_fma_f32 v41, v4, v53, -v58
	v_fmac_f32_e32 v40, v5, v53
	v_fma_f32 v37, v6, v59, -v54
	v_fma_f32 v15, v16, v65, -v56
	v_fmac_f32_e32 v33, v17, v65
	v_fma_f32 v17, v8, v61, -v60
	v_add_f32_e32 v5, v46, v29
	v_sub_f32_e32 v53, v52, v22
	v_sub_f32_e32 v54, v46, v29
	v_add_f32_e32 v8, v52, v22
	v_add_f32_e32 v56, v1, v46
	v_mul_f32_e32 v58, 0xbe750f2a, v48
	v_mul_f32_e32 v70, 0xbf29c268, v48
	v_add_f32_e32 v52, v57, v52
	v_fma_f32 v14, v18, v55, -v67
	v_fmac_f32_e32 v32, v19, v55
	v_fmac_f32_e32 v36, v7, v59
	;; [unrolled: 1-line block ×3, first 2 shown]
	v_add_f32_e32 v4, v44, v30
	v_sub_f32_e32 v45, v43, v20
	v_add_f32_e32 v9, v47, v27
	v_sub_f32_e32 v55, v44, v30
	v_add_f32_e32 v7, v43, v20
	v_mul_f32_e32 v59, 0xbe750f2a, v54
	v_mul_f32_e32 v60, 0x3eedf032, v53
	v_mul_f32_e32 v71, 0x3f7e222b, v53
	v_mul_f32_e32 v82, 0xbf6f5d39, v48
	v_mul_f32_e32 v84, 0xbf6f5d39, v54
	v_add_f32_e32 v44, v56, v44
	v_fmamk_f32 v95, v5, 0xbf788fa5, v58
	v_fmamk_f32 v99, v5, 0xbf3f9e67, v70
	v_add_f32_e32 v43, v52, v43
	v_mul_f32_e32 v66, v11, v64
	v_mul_f32_e32 v34, v10, v64
	v_add_f32_e32 v3, v39, v31
	v_sub_f32_e32 v28, v41, v14
	v_sub_f32_e32 v42, v39, v31
	v_add_f32_e32 v6, v41, v14
	v_mul_f32_e32 v62, 0x3eedf032, v55
	v_mul_f32_e32 v72, 0xbf29c268, v54
	;; [unrolled: 1-line block ×7, first 2 shown]
	v_fma_f32 v96, 0xbf788fa5, v9, -v59
	v_fmamk_f32 v97, v4, 0x3f62ad3f, v60
	v_fmamk_f32 v100, v4, 0x3df6dbef, v71
	;; [unrolled: 1-line block ×3, first 2 shown]
	v_add_f32_e32 v39, v44, v39
	v_fma_f32 v44, 0xbeb58ec6, v9, -v84
	v_add_f32_e32 v95, v1, v95
	v_add_f32_e32 v41, v43, v41
	;; [unrolled: 1-line block ×3, first 2 shown]
	v_fmac_f32_e32 v84, 0xbeb58ec6, v9
	v_fma_f32 v16, v10, v63, -v66
	v_fmac_f32_e32 v34, v11, v63
	v_add_f32_e32 v2, v40, v32
	v_sub_f32_e32 v38, v40, v32
	v_sub_f32_e32 v18, v37, v15
	v_add_f32_e32 v13, v37, v15
	v_mul_f32_e32 v61, 0xbf29c268, v45
	v_mul_f32_e32 v63, 0xbf29c268, v42
	;; [unrolled: 1-line block ×10, first 2 shown]
	v_fma_f32 v98, 0x3f62ad3f, v8, -v62
	v_fma_f32 v101, 0xbf3f9e67, v9, -v72
	v_fmamk_f32 v104, v4, 0xbf3f9e67, v83
	v_fma_f32 v52, 0xbf3f9e67, v8, -v85
	v_add_f32_e32 v39, v39, v40
	v_fmamk_f32 v40, v5, 0x3df6dbef, v87
	v_add_f32_e32 v96, v0, v96
	v_add_f32_e32 v95, v95, v97
	v_fma_f32 v97, 0x3df6dbef, v9, -v89
	v_add_f32_e32 v103, v1, v103
	v_add_f32_e32 v99, v99, v100
	v_fmac_f32_e32 v85, 0xbf3f9e67, v8
	v_add_f32_e32 v84, v0, v84
	v_add_f32_e32 v37, v41, v37
	v_fmamk_f32 v41, v3, 0x3f116cb1, v74
	v_add_f32_e32 v11, v36, v33
	v_sub_f32_e32 v19, v36, v33
	v_mul_f32_e32 v64, 0x3f52af12, v28
	v_mul_f32_e32 v75, 0xbf52af12, v42
	;; [unrolled: 1-line block ×6, first 2 shown]
	v_fma_f32 v102, 0x3df6dbef, v8, -v73
	v_fmamk_f32 v43, v4, 0xbf788fa5, v88
	v_add_f32_e32 v96, v96, v98
	v_fma_f32 v98, 0xbf788fa5, v8, -v90
	v_add_f32_e32 v101, v0, v101
	v_fmamk_f32 v100, v5, 0x3f116cb1, v91
	v_add_f32_e32 v44, v0, v44
	v_add_f32_e32 v103, v103, v104
	v_fma_f32 v104, 0x3f116cb1, v9, -v51
	v_add_f32_e32 v40, v1, v40
	v_add_f32_e32 v97, v0, v97
	v_fma_f32 v70, 0xbf3f9e67, v5, -v70
	v_add_f32_e32 v84, v84, v85
	v_fmamk_f32 v85, v3, 0xbf3f9e67, v61
	v_add_f32_e32 v36, v39, v36
	v_fma_f32 v39, 0xbf3f9e67, v7, -v63
	v_add_f32_e32 v41, v99, v41
	v_fma_f32 v99, 0x3f62ad3f, v7, -v53
	v_fmac_f32_e32 v53, 0x3f62ad3f, v7
	v_mul_f32_e32 v76, 0x3e750f2a, v28
	v_mul_f32_e32 v77, 0x3e750f2a, v38
	;; [unrolled: 1-line block ×6, first 2 shown]
	v_add_f32_e32 v101, v101, v102
	v_fmamk_f32 v102, v4, 0xbeb58ec6, v92
	v_add_f32_e32 v44, v44, v52
	v_fma_f32 v52, 0xbeb58ec6, v8, -v49
	v_add_f32_e32 v100, v1, v100
	v_add_f32_e32 v40, v40, v43
	v_fmamk_f32 v43, v5, 0x3f62ad3f, v50
	v_add_f32_e32 v104, v0, v104
	v_add_f32_e32 v97, v97, v98
	v_fma_f32 v98, 0x3f62ad3f, v9, -v48
	v_fma_f32 v71, 0x3df6dbef, v4, -v71
	v_add_f32_e32 v70, v1, v70
	v_fmac_f32_e32 v72, 0xbf3f9e67, v9
	v_fma_f32 v82, 0xbeb58ec6, v5, -v82
	v_add_f32_e32 v85, v95, v85
	v_fma_f32 v95, 0x3f116cb1, v7, -v75
	v_add_f32_e32 v39, v96, v39
	v_fmamk_f32 v96, v3, 0x3f62ad3f, v86
	v_add_f32_e32 v53, v84, v53
	v_fmamk_f32 v84, v2, 0x3f116cb1, v64
	v_sub_f32_e32 v21, v17, v16
	v_add_f32_e32 v10, v17, v16
	v_mul_f32_e32 v65, 0x3f52af12, v38
	v_mul_f32_e32 v55, 0xbf7e222b, v38
	;; [unrolled: 1-line block ×4, first 2 shown]
	v_add_f32_e32 v100, v100, v102
	v_fmamk_f32 v102, v4, 0x3f116cb1, v47
	v_add_f32_e32 v43, v1, v43
	v_add_f32_e32 v52, v104, v52
	v_fma_f32 v104, 0x3f116cb1, v8, -v46
	v_add_f32_e32 v98, v0, v98
	v_fma_f32 v58, 0xbf788fa5, v5, -v58
	v_fmac_f32_e32 v59, 0xbf788fa5, v9
	v_add_f32_e32 v70, v70, v71
	v_mul_f32_e32 v71, 0x3eedf032, v28
	v_fmac_f32_e32 v73, 0x3df6dbef, v8
	v_add_f32_e32 v72, v0, v72
	v_fma_f32 v83, 0xbf3f9e67, v4, -v83
	v_add_f32_e32 v82, v1, v82
	v_add_f32_e32 v95, v101, v95
	v_fmamk_f32 v101, v3, 0xbeb58ec6, v56
	v_add_f32_e32 v96, v103, v96
	v_fma_f32 v103, 0xbeb58ec6, v7, -v57
	v_add_f32_e32 v44, v44, v99
	v_fmamk_f32 v99, v3, 0xbf788fa5, v93
	v_add_f32_e32 v17, v37, v17
	v_fmamk_f32 v37, v2, 0xbf788fa5, v76
	v_add_f32_e32 v84, v85, v84
	v_fma_f32 v85, 0xbf788fa5, v6, -v77
	v_add_f32_e32 v12, v35, v34
	v_sub_f32_e32 v23, v35, v34
	v_mul_f32_e32 v54, 0xbf7e222b, v28
	v_mul_f32_e32 v105, 0xbf7e222b, v42
	v_add_f32_e32 v42, v43, v102
	v_add_f32_e32 v98, v98, v104
	v_fma_f32 v60, 0x3f62ad3f, v4, -v60
	v_add_f32_e32 v58, v1, v58
	v_fmac_f32_e32 v62, 0x3f62ad3f, v8
	v_add_f32_e32 v59, v0, v59
	v_add_f32_e32 v72, v72, v73
	v_mul_f32_e32 v73, 0x3eedf032, v38
	v_add_f32_e32 v82, v82, v83
	v_mul_f32_e32 v83, 0x3f29c268, v28
	;; [unrolled: 2-line block ×3, first 2 shown]
	v_add_f32_e32 v97, v97, v103
	v_fma_f32 v103, 0xbf788fa5, v7, -v94
	v_mul_f32_e32 v104, 0xbf6f5d39, v28
	v_add_f32_e32 v28, v100, v99
	v_fmamk_f32 v99, v3, 0x3df6dbef, v45
	v_fma_f32 v74, 0x3f116cb1, v3, -v74
	v_add_f32_e32 v35, v36, v35
	v_fma_f32 v36, 0x3f116cb1, v6, -v65
	v_add_f32_e32 v37, v41, v37
	;; [unrolled: 2-line block ×3, first 2 shown]
	v_fmamk_f32 v95, v2, 0x3f62ad3f, v71
	v_mul_f32_e32 v66, 0xbf6f5d39, v18
	v_mul_f32_e32 v78, 0x3eedf032, v18
	;; [unrolled: 1-line block ×3, first 2 shown]
	v_add_f32_e32 v58, v58, v60
	v_add_f32_e32 v59, v59, v62
	v_mul_f32_e32 v100, 0xbf6f5d39, v38
	v_add_f32_e32 v38, v52, v103
	v_fma_f32 v52, 0x3df6dbef, v7, -v105
	v_fma_f32 v61, 0xbf3f9e67, v3, -v61
	v_add_f32_e32 v42, v42, v99
	v_mul_f32_e32 v99, 0xbf52af12, v18
	v_fmac_f32_e32 v63, 0xbf3f9e67, v7
	v_fmac_f32_e32 v75, 0x3f116cb1, v7
	v_fma_f32 v86, 0x3f62ad3f, v3, -v86
	v_add_f32_e32 v70, v70, v74
	v_mul_f32_e32 v74, 0x3f7e222b, v18
	v_add_f32_e32 v36, v39, v36
	v_fmamk_f32 v39, v2, 0x3df6dbef, v54
	v_add_f32_e32 v41, v44, v41
	v_fma_f32 v44, 0x3f62ad3f, v6, -v73
	v_mul_f32_e32 v103, 0xbf29c268, v18
	v_add_f32_e32 v18, v40, v95
	v_fmamk_f32 v40, v2, 0xbf3f9e67, v83
	v_fma_f32 v95, 0xbf3f9e67, v6, -v101
	v_mul_f32_e32 v67, 0xbf6f5d39, v19
	v_mul_f32_e32 v68, 0x3f7e222b, v21
	v_mul_f32_e32 v69, 0x3f7e222b, v23
	v_mul_f32_e32 v80, 0xbf6f5d39, v21
	v_mul_f32_e32 v81, 0xbf6f5d39, v23
	v_mul_f32_e32 v60, 0x3f52af12, v21
	v_mul_f32_e32 v62, 0x3f52af12, v23
	v_add_f32_e32 v52, v98, v52
	v_add_f32_e32 v58, v58, v61
	v_mul_f32_e32 v61, 0xbf29c268, v21
	v_add_f32_e32 v59, v59, v63
	v_mul_f32_e32 v63, 0xbf29c268, v23
	v_add_f32_e32 v72, v72, v75
	v_add_f32_e32 v82, v82, v86
	v_mul_f32_e32 v86, 0x3eedf032, v21
	v_add_f32_e32 v39, v96, v39
	v_mul_f32_e32 v96, 0x3eedf032, v23
	;; [unrolled: 2-line block ×4, first 2 shown]
	v_add_f32_e32 v23, v38, v95
	v_fma_f32 v38, 0xbeb58ec6, v6, -v100
	v_fma_f32 v40, 0x3f116cb1, v2, -v64
	;; [unrolled: 1-line block ×3, first 2 shown]
	v_fmac_f32_e32 v77, 0xbf788fa5, v6
	v_mul_f32_e32 v79, 0x3eedf032, v19
	v_mul_f32_e32 v102, 0x3e750f2a, v19
	;; [unrolled: 1-line block ×5, first 2 shown]
	v_fmamk_f32 v28, v2, 0xbeb58ec6, v104
	v_add_f32_e32 v38, v52, v38
	v_fma_f32 v52, 0xbeb58ec6, v13, -v67
	v_fma_f32 v54, 0x3df6dbef, v2, -v54
	v_add_f32_e32 v64, v70, v64
	v_fmamk_f32 v70, v11, 0x3f62ad3f, v78
	v_add_f32_e32 v72, v72, v77
	v_fmamk_f32 v77, v11, 0xbf788fa5, v43
	v_add_f32_e32 v28, v42, v28
	v_fma_f32 v76, 0x3f62ad3f, v13, -v79
	v_add_f32_e32 v54, v82, v54
	v_add_f32_e32 v34, v35, v34
	;; [unrolled: 1-line block ×3, first 2 shown]
	v_fmamk_f32 v82, v11, 0x3df6dbef, v74
	v_add_f32_e32 v36, v36, v52
	v_fma_f32 v52, 0x3df6dbef, v13, -v75
	v_add_f32_e32 v37, v37, v70
	v_fmamk_f32 v70, v11, 0xbf3f9e67, v103
	v_add_f32_e32 v39, v39, v77
	v_fma_f32 v77, 0xbf3f9e67, v13, -v19
	v_fmac_f32_e32 v79, 0x3f62ad3f, v13
	v_fmac_f32_e32 v89, 0x3df6dbef, v9
	v_fmamk_f32 v42, v11, 0xbeb58ec6, v66
	v_fmamk_f32 v35, v11, 0x3f116cb1, v99
	v_add_f32_e32 v21, v21, v82
	v_add_f32_e32 v23, v23, v52
	;; [unrolled: 1-line block ×3, first 2 shown]
	v_fmamk_f32 v52, v12, 0x3f62ad3f, v86
	v_add_f32_e32 v70, v38, v77
	v_fma_f32 v38, 0x3df6dbef, v5, -v87
	v_fma_f32 v82, 0xbf788fa5, v4, -v88
	v_add_f32_e32 v88, v0, v89
	v_add_f32_e32 v72, v72, v79
	;; [unrolled: 1-line block ×5, first 2 shown]
	v_fmamk_f32 v84, v12, 0xbeb58ec6, v80
	v_add_f32_e32 v35, v18, v35
	v_fma_f32 v18, 0xbf788fa5, v11, -v43
	v_fma_f32 v77, 0x3f62ad3f, v10, -v96
	v_add_f32_e32 v87, v1, v38
	v_add_f32_e32 v38, v21, v52
	;; [unrolled: 1-line block ×5, first 2 shown]
	v_fma_f32 v66, 0xbeb58ec6, v11, -v66
	v_add_f32_e32 v54, v54, v18
	v_add_f32_e32 v18, v37, v84
	;; [unrolled: 1-line block ×5, first 2 shown]
	v_fmac_f32_e32 v65, 0x3f116cb1, v6
	v_fma_f32 v17, 0x3f116cb1, v13, -v98
	v_add_f32_e32 v66, v40, v66
	v_fmamk_f32 v40, v12, 0xbf788fa5, v97
	v_add_f32_e32 v23, v30, v23
	v_add_f32_e32 v14, v22, v14
	v_fmac_f32_e32 v90, 0xbf788fa5, v8
	v_add_f32_e32 v59, v59, v65
	v_fma_f32 v65, 0x3df6dbef, v10, -v69
	v_add_f32_e32 v44, v44, v17
	v_fma_f32 v17, 0x3f62ad3f, v11, -v78
	v_fmamk_f32 v78, v12, 0xbf3f9e67, v61
	v_fma_f32 v43, 0xbf3f9e67, v10, -v63
	v_add_f32_e32 v40, v28, v40
	v_add_f32_e32 v23, v29, v23
	;; [unrolled: 1-line block ×3, first 2 shown]
	v_fma_f32 v29, 0xbeb58ec6, v3, -v56
	v_add_f32_e32 v22, v27, v14
	v_fma_f32 v14, 0x3f116cb1, v5, -v91
	v_add_f32_e32 v27, v88, v90
	v_fmac_f32_e32 v57, 0xbeb58ec6, v7
	v_fmac_f32_e32 v51, 0x3f116cb1, v9
	v_fma_f32 v5, 0x3f62ad3f, v5, -v50
	v_fmac_f32_e32 v48, 0x3f62ad3f, v9
	v_add_f32_e32 v15, v36, v65
	v_add_f32_e32 v36, v35, v78
	;; [unrolled: 1-line block ×4, first 2 shown]
	v_fma_f32 v29, 0x3f62ad3f, v2, -v71
	v_add_f32_e32 v14, v1, v14
	v_fma_f32 v30, 0xbeb58ec6, v4, -v92
	v_add_f32_e32 v27, v27, v57
	v_fmac_f32_e32 v73, 0x3f62ad3f, v6
	v_add_f32_e32 v43, v0, v51
	v_add_f32_e32 v1, v1, v5
	v_fma_f32 v4, 0x3f116cb1, v4, -v47
	v_add_f32_e32 v0, v0, v48
	v_fmac_f32_e32 v46, 0x3f116cb1, v8
	v_add_f32_e32 v28, v28, v29
	v_fma_f32 v29, 0x3f116cb1, v11, -v99
	v_add_f32_e32 v14, v14, v30
	v_fma_f32 v30, 0xbf788fa5, v3, -v93
	v_add_f32_e32 v27, v27, v73
	v_fmac_f32_e32 v98, 0x3f116cb1, v13
	v_fmac_f32_e32 v49, 0xbeb58ec6, v8
	v_add_f32_e32 v1, v1, v4
	v_fma_f32 v3, 0x3df6dbef, v3, -v45
	v_add_f32_e32 v0, v0, v46
	v_fmac_f32_e32 v105, 0x3df6dbef, v7
	v_add_f32_e32 v28, v28, v29
	v_fma_f32 v29, 0xbf3f9e67, v12, -v61
	v_add_f32_e32 v14, v14, v30
	v_fma_f32 v30, 0xbf3f9e67, v2, -v83
	v_add_f32_e32 v27, v27, v98
	v_fmac_f32_e32 v63, 0xbf3f9e67, v10
	v_add_f32_e32 v9, v43, v49
	v_fmac_f32_e32 v94, 0xbf788fa5, v7
	v_add_f32_e32 v1, v1, v3
	v_fma_f32 v2, 0xbeb58ec6, v2, -v104
	v_add_f32_e32 v0, v0, v105
	v_fmac_f32_e32 v100, 0xbeb58ec6, v6
	v_add_f32_e32 v29, v28, v29
	v_add_f32_e32 v28, v27, v63
	;; [unrolled: 1-line block ×3, first 2 shown]
	v_fmac_f32_e32 v101, 0xbf3f9e67, v6
	v_add_f32_e32 v1, v1, v2
	v_fma_f32 v2, 0xbf3f9e67, v11, -v103
	v_add_f32_e32 v0, v0, v100
	v_fmac_f32_e32 v19, 0xbf3f9e67, v13
	v_mov_b32_e32 v27, 0
	v_fmac_f32_e32 v55, 0x3df6dbef, v6
	v_add_f32_e32 v4, v5, v101
	v_add_f32_e32 v5, v1, v2
	;; [unrolled: 1-line block ×3, first 2 shown]
	v_lshlrev_b64 v[0:1], 3, v[26:27]
	v_add_co_u32 v2, vcc_lo, s2, v24
	v_fmac_f32_e32 v67, 0xbeb58ec6, v13
	v_fmac_f32_e32 v75, 0x3df6dbef, v13
	v_add_co_ci_u32_e32 v8, vcc_lo, s3, v25, vcc_lo
	v_add_f32_e32 v53, v53, v55
	v_fma_f32 v55, 0xbf788fa5, v13, -v102
	v_fma_f32 v6, 0xbf788fa5, v12, -v97
	v_add_co_u32 v0, vcc_lo, v2, v0
	v_add_f32_e32 v76, v85, v76
	v_fmamk_f32 v85, v12, 0x3f116cb1, v60
	v_add_f32_e32 v59, v59, v67
	v_fma_f32 v67, 0xbf788fa5, v10, -v106
	v_add_f32_e32 v4, v4, v75
	v_fmac_f32_e32 v96, 0x3f62ad3f, v10
	v_fmac_f32_e32 v106, 0xbf788fa5, v10
	v_add_co_ci_u32_e32 v1, vcc_lo, v8, v1, vcc_lo
	v_add_f32_e32 v41, v41, v55
	v_fma_f32 v95, 0x3f116cb1, v10, -v62
	v_fma_f32 v55, 0xbeb58ec6, v10, -v81
	v_fmac_f32_e32 v102, 0xbf788fa5, v13
	v_fmamk_f32 v58, v12, 0x3df6dbef, v68
	v_add_f32_e32 v5, v5, v6
	v_add_co_u32 v6, vcc_lo, 0x800, v0
	v_add_f32_e32 v14, v14, v30
	v_fma_f32 v30, 0x3df6dbef, v11, -v74
	v_fma_f32 v68, 0x3df6dbef, v12, -v68
	v_fmac_f32_e32 v69, 0x3df6dbef, v10
	v_add_f32_e32 v34, v39, v85
	v_add_f32_e32 v39, v70, v67
	;; [unrolled: 1-line block ×4, first 2 shown]
	v_add_co_ci_u32_e32 v7, vcc_lo, 0, v1, vcc_lo
	v_fma_f32 v80, 0xbeb58ec6, v12, -v80
	v_fmac_f32_e32 v81, 0xbeb58ec6, v10
	v_add_f32_e32 v64, v64, v17
	v_add_f32_e32 v33, v41, v95
	v_add_co_u32 v8, vcc_lo, 0x1000, v0
	v_fma_f32 v60, 0x3f116cb1, v12, -v60
	v_fmac_f32_e32 v62, 0x3f116cb1, v10
	v_add_f32_e32 v53, v53, v102
	v_add_f32_e32 v17, v76, v55
	;; [unrolled: 1-line block ×3, first 2 shown]
	v_add_co_ci_u32_e32 v9, vcc_lo, 0, v1, vcc_lo
	v_add_f32_e32 v14, v14, v30
	v_fma_f32 v3, 0x3f62ad3f, v12, -v86
	global_store_dwordx2 v[0:1], v[22:23], off
	global_store_dwordx2 v[0:1], v[39:40], off offset:800
	global_store_dwordx2 v[0:1], v[37:38], off offset:1600
	;; [unrolled: 1-line block ×6, first 2 shown]
	v_add_co_u32 v6, vcc_lo, 0x1800, v0
	v_add_f32_e32 v32, v66, v68
	v_add_f32_e32 v31, v59, v69
	;; [unrolled: 1-line block ×4, first 2 shown]
	v_add_co_ci_u32_e32 v7, vcc_lo, 0, v1, vcc_lo
	v_add_f32_e32 v42, v54, v60
	v_add_f32_e32 v41, v53, v62
	v_add_co_u32 v0, vcc_lo, 0x2000, v0
	v_add_f32_e32 v3, v14, v3
	v_add_co_ci_u32_e32 v1, vcc_lo, 0, v1, vcc_lo
	global_store_dwordx2 v[8:9], v[31:32], off offset:1504
	global_store_dwordx2 v[6:7], v[20:21], off offset:256
	;; [unrolled: 1-line block ×6, first 2 shown]
	s_endpgm
	.section	.rodata,"a",@progbits
	.p2align	6, 0x0
	.amdhsa_kernel fft_rtc_fwd_len1300_factors_10_10_13_wgs_130_tpt_130_sp_ip_CI_unitstride_sbrr_dirReg
		.amdhsa_group_segment_fixed_size 0
		.amdhsa_private_segment_fixed_size 0
		.amdhsa_kernarg_size 88
		.amdhsa_user_sgpr_count 6
		.amdhsa_user_sgpr_private_segment_buffer 1
		.amdhsa_user_sgpr_dispatch_ptr 0
		.amdhsa_user_sgpr_queue_ptr 0
		.amdhsa_user_sgpr_kernarg_segment_ptr 1
		.amdhsa_user_sgpr_dispatch_id 0
		.amdhsa_user_sgpr_flat_scratch_init 0
		.amdhsa_user_sgpr_private_segment_size 0
		.amdhsa_wavefront_size32 1
		.amdhsa_uses_dynamic_stack 0
		.amdhsa_system_sgpr_private_segment_wavefront_offset 0
		.amdhsa_system_sgpr_workgroup_id_x 1
		.amdhsa_system_sgpr_workgroup_id_y 0
		.amdhsa_system_sgpr_workgroup_id_z 0
		.amdhsa_system_sgpr_workgroup_info 0
		.amdhsa_system_vgpr_workitem_id 0
		.amdhsa_next_free_vgpr 107
		.amdhsa_next_free_sgpr 21
		.amdhsa_reserve_vcc 1
		.amdhsa_reserve_flat_scratch 0
		.amdhsa_float_round_mode_32 0
		.amdhsa_float_round_mode_16_64 0
		.amdhsa_float_denorm_mode_32 3
		.amdhsa_float_denorm_mode_16_64 3
		.amdhsa_dx10_clamp 1
		.amdhsa_ieee_mode 1
		.amdhsa_fp16_overflow 0
		.amdhsa_workgroup_processor_mode 1
		.amdhsa_memory_ordered 1
		.amdhsa_forward_progress 0
		.amdhsa_shared_vgpr_count 0
		.amdhsa_exception_fp_ieee_invalid_op 0
		.amdhsa_exception_fp_denorm_src 0
		.amdhsa_exception_fp_ieee_div_zero 0
		.amdhsa_exception_fp_ieee_overflow 0
		.amdhsa_exception_fp_ieee_underflow 0
		.amdhsa_exception_fp_ieee_inexact 0
		.amdhsa_exception_int_div_zero 0
	.end_amdhsa_kernel
	.text
.Lfunc_end0:
	.size	fft_rtc_fwd_len1300_factors_10_10_13_wgs_130_tpt_130_sp_ip_CI_unitstride_sbrr_dirReg, .Lfunc_end0-fft_rtc_fwd_len1300_factors_10_10_13_wgs_130_tpt_130_sp_ip_CI_unitstride_sbrr_dirReg
                                        ; -- End function
	.section	.AMDGPU.csdata,"",@progbits
; Kernel info:
; codeLenInByte = 7168
; NumSgprs: 23
; NumVgprs: 107
; ScratchSize: 0
; MemoryBound: 0
; FloatMode: 240
; IeeeMode: 1
; LDSByteSize: 0 bytes/workgroup (compile time only)
; SGPRBlocks: 2
; VGPRBlocks: 13
; NumSGPRsForWavesPerEU: 23
; NumVGPRsForWavesPerEU: 107
; Occupancy: 9
; WaveLimiterHint : 1
; COMPUTE_PGM_RSRC2:SCRATCH_EN: 0
; COMPUTE_PGM_RSRC2:USER_SGPR: 6
; COMPUTE_PGM_RSRC2:TRAP_HANDLER: 0
; COMPUTE_PGM_RSRC2:TGID_X_EN: 1
; COMPUTE_PGM_RSRC2:TGID_Y_EN: 0
; COMPUTE_PGM_RSRC2:TGID_Z_EN: 0
; COMPUTE_PGM_RSRC2:TIDIG_COMP_CNT: 0
	.text
	.p2alignl 6, 3214868480
	.fill 48, 4, 3214868480
	.type	__hip_cuid_d34eb753a67b5550,@object ; @__hip_cuid_d34eb753a67b5550
	.section	.bss,"aw",@nobits
	.globl	__hip_cuid_d34eb753a67b5550
__hip_cuid_d34eb753a67b5550:
	.byte	0                               ; 0x0
	.size	__hip_cuid_d34eb753a67b5550, 1

	.ident	"AMD clang version 19.0.0git (https://github.com/RadeonOpenCompute/llvm-project roc-6.4.0 25133 c7fe45cf4b819c5991fe208aaa96edf142730f1d)"
	.section	".note.GNU-stack","",@progbits
	.addrsig
	.addrsig_sym __hip_cuid_d34eb753a67b5550
	.amdgpu_metadata
---
amdhsa.kernels:
  - .args:
      - .actual_access:  read_only
        .address_space:  global
        .offset:         0
        .size:           8
        .value_kind:     global_buffer
      - .offset:         8
        .size:           8
        .value_kind:     by_value
      - .actual_access:  read_only
        .address_space:  global
        .offset:         16
        .size:           8
        .value_kind:     global_buffer
      - .actual_access:  read_only
        .address_space:  global
        .offset:         24
        .size:           8
        .value_kind:     global_buffer
      - .offset:         32
        .size:           8
        .value_kind:     by_value
      - .actual_access:  read_only
        .address_space:  global
        .offset:         40
        .size:           8
        .value_kind:     global_buffer
      - .actual_access:  read_only
        .address_space:  global
        .offset:         48
        .size:           8
        .value_kind:     global_buffer
      - .offset:         56
        .size:           4
        .value_kind:     by_value
      - .actual_access:  read_only
        .address_space:  global
        .offset:         64
        .size:           8
        .value_kind:     global_buffer
      - .actual_access:  read_only
        .address_space:  global
        .offset:         72
        .size:           8
        .value_kind:     global_buffer
      - .address_space:  global
        .offset:         80
        .size:           8
        .value_kind:     global_buffer
    .group_segment_fixed_size: 0
    .kernarg_segment_align: 8
    .kernarg_segment_size: 88
    .language:       OpenCL C
    .language_version:
      - 2
      - 0
    .max_flat_workgroup_size: 130
    .name:           fft_rtc_fwd_len1300_factors_10_10_13_wgs_130_tpt_130_sp_ip_CI_unitstride_sbrr_dirReg
    .private_segment_fixed_size: 0
    .sgpr_count:     23
    .sgpr_spill_count: 0
    .symbol:         fft_rtc_fwd_len1300_factors_10_10_13_wgs_130_tpt_130_sp_ip_CI_unitstride_sbrr_dirReg.kd
    .uniform_work_group_size: 1
    .uses_dynamic_stack: false
    .vgpr_count:     107
    .vgpr_spill_count: 0
    .wavefront_size: 32
    .workgroup_processor_mode: 1
amdhsa.target:   amdgcn-amd-amdhsa--gfx1030
amdhsa.version:
  - 1
  - 2
...

	.end_amdgpu_metadata
